;; amdgpu-corpus repo=ROCm/rocFFT kind=compiled arch=gfx906 opt=O3
	.text
	.amdgcn_target "amdgcn-amd-amdhsa--gfx906"
	.amdhsa_code_object_version 6
	.protected	fft_rtc_fwd_len1500_factors_5_10_10_3_wgs_150_tpt_150_halfLds_sp_ip_CI_unitstride_sbrr_R2C_dirReg ; -- Begin function fft_rtc_fwd_len1500_factors_5_10_10_3_wgs_150_tpt_150_halfLds_sp_ip_CI_unitstride_sbrr_R2C_dirReg
	.globl	fft_rtc_fwd_len1500_factors_5_10_10_3_wgs_150_tpt_150_halfLds_sp_ip_CI_unitstride_sbrr_R2C_dirReg
	.p2align	8
	.type	fft_rtc_fwd_len1500_factors_5_10_10_3_wgs_150_tpt_150_halfLds_sp_ip_CI_unitstride_sbrr_R2C_dirReg,@function
fft_rtc_fwd_len1500_factors_5_10_10_3_wgs_150_tpt_150_halfLds_sp_ip_CI_unitstride_sbrr_R2C_dirReg: ; @fft_rtc_fwd_len1500_factors_5_10_10_3_wgs_150_tpt_150_halfLds_sp_ip_CI_unitstride_sbrr_R2C_dirReg
; %bb.0:
	s_load_dwordx2 s[12:13], s[4:5], 0x50
	s_load_dwordx4 s[8:11], s[4:5], 0x0
	s_load_dwordx2 s[2:3], s[4:5], 0x18
	v_mul_u32_u24_e32 v1, 0x1b5, v0
	v_add_u32_sdwa v5, s6, v1 dst_sel:DWORD dst_unused:UNUSED_PAD src0_sel:DWORD src1_sel:WORD_1
	v_mov_b32_e32 v3, 0
	s_waitcnt lgkmcnt(0)
	v_cmp_lt_u64_e64 s[0:1], s[10:11], 2
	v_mov_b32_e32 v1, 0
	v_mov_b32_e32 v6, v3
	s_and_b64 vcc, exec, s[0:1]
	v_mov_b32_e32 v2, 0
	s_cbranch_vccnz .LBB0_8
; %bb.1:
	s_load_dwordx2 s[0:1], s[4:5], 0x10
	s_add_u32 s6, s2, 8
	s_addc_u32 s7, s3, 0
	v_mov_b32_e32 v1, 0
	v_mov_b32_e32 v2, 0
	s_waitcnt lgkmcnt(0)
	s_add_u32 s14, s0, 8
	s_addc_u32 s15, s1, 0
	s_mov_b64 s[16:17], 1
.LBB0_2:                                ; =>This Inner Loop Header: Depth=1
	s_load_dwordx2 s[18:19], s[14:15], 0x0
                                        ; implicit-def: $vgpr7_vgpr8
	s_waitcnt lgkmcnt(0)
	v_or_b32_e32 v4, s19, v6
	v_cmp_ne_u64_e32 vcc, 0, v[3:4]
	s_and_saveexec_b64 s[0:1], vcc
	s_xor_b64 s[20:21], exec, s[0:1]
	s_cbranch_execz .LBB0_4
; %bb.3:                                ;   in Loop: Header=BB0_2 Depth=1
	v_cvt_f32_u32_e32 v4, s18
	v_cvt_f32_u32_e32 v7, s19
	s_sub_u32 s0, 0, s18
	s_subb_u32 s1, 0, s19
	v_mac_f32_e32 v4, 0x4f800000, v7
	v_rcp_f32_e32 v4, v4
	v_mul_f32_e32 v4, 0x5f7ffffc, v4
	v_mul_f32_e32 v7, 0x2f800000, v4
	v_trunc_f32_e32 v7, v7
	v_mac_f32_e32 v4, 0xcf800000, v7
	v_cvt_u32_f32_e32 v7, v7
	v_cvt_u32_f32_e32 v4, v4
	v_mul_lo_u32 v8, s0, v7
	v_mul_hi_u32 v9, s0, v4
	v_mul_lo_u32 v11, s1, v4
	v_mul_lo_u32 v10, s0, v4
	v_add_u32_e32 v8, v9, v8
	v_add_u32_e32 v8, v8, v11
	v_mul_hi_u32 v9, v4, v10
	v_mul_lo_u32 v11, v4, v8
	v_mul_hi_u32 v13, v4, v8
	v_mul_hi_u32 v12, v7, v10
	v_mul_lo_u32 v10, v7, v10
	v_mul_hi_u32 v14, v7, v8
	v_add_co_u32_e32 v9, vcc, v9, v11
	v_addc_co_u32_e32 v11, vcc, 0, v13, vcc
	v_mul_lo_u32 v8, v7, v8
	v_add_co_u32_e32 v9, vcc, v9, v10
	v_addc_co_u32_e32 v9, vcc, v11, v12, vcc
	v_addc_co_u32_e32 v10, vcc, 0, v14, vcc
	v_add_co_u32_e32 v8, vcc, v9, v8
	v_addc_co_u32_e32 v9, vcc, 0, v10, vcc
	v_add_co_u32_e32 v4, vcc, v4, v8
	v_addc_co_u32_e32 v7, vcc, v7, v9, vcc
	v_mul_lo_u32 v8, s0, v7
	v_mul_hi_u32 v9, s0, v4
	v_mul_lo_u32 v10, s1, v4
	v_mul_lo_u32 v11, s0, v4
	v_add_u32_e32 v8, v9, v8
	v_add_u32_e32 v8, v8, v10
	v_mul_lo_u32 v12, v4, v8
	v_mul_hi_u32 v13, v4, v11
	v_mul_hi_u32 v14, v4, v8
	;; [unrolled: 1-line block ×3, first 2 shown]
	v_mul_lo_u32 v11, v7, v11
	v_mul_hi_u32 v9, v7, v8
	v_add_co_u32_e32 v12, vcc, v13, v12
	v_addc_co_u32_e32 v13, vcc, 0, v14, vcc
	v_mul_lo_u32 v8, v7, v8
	v_add_co_u32_e32 v11, vcc, v12, v11
	v_addc_co_u32_e32 v10, vcc, v13, v10, vcc
	v_addc_co_u32_e32 v9, vcc, 0, v9, vcc
	v_add_co_u32_e32 v8, vcc, v10, v8
	v_addc_co_u32_e32 v9, vcc, 0, v9, vcc
	v_add_co_u32_e32 v4, vcc, v4, v8
	v_addc_co_u32_e32 v9, vcc, v7, v9, vcc
	v_mad_u64_u32 v[7:8], s[0:1], v5, v9, 0
	v_mul_hi_u32 v10, v5, v4
	v_add_co_u32_e32 v11, vcc, v10, v7
	v_addc_co_u32_e32 v12, vcc, 0, v8, vcc
	v_mad_u64_u32 v[7:8], s[0:1], v6, v4, 0
	v_mad_u64_u32 v[9:10], s[0:1], v6, v9, 0
	v_add_co_u32_e32 v4, vcc, v11, v7
	v_addc_co_u32_e32 v4, vcc, v12, v8, vcc
	v_addc_co_u32_e32 v7, vcc, 0, v10, vcc
	v_add_co_u32_e32 v4, vcc, v4, v9
	v_addc_co_u32_e32 v9, vcc, 0, v7, vcc
	v_mul_lo_u32 v10, s19, v4
	v_mul_lo_u32 v11, s18, v9
	v_mad_u64_u32 v[7:8], s[0:1], s18, v4, 0
	v_add3_u32 v8, v8, v11, v10
	v_sub_u32_e32 v10, v6, v8
	v_mov_b32_e32 v11, s19
	v_sub_co_u32_e32 v7, vcc, v5, v7
	v_subb_co_u32_e64 v10, s[0:1], v10, v11, vcc
	v_subrev_co_u32_e64 v11, s[0:1], s18, v7
	v_subbrev_co_u32_e64 v10, s[0:1], 0, v10, s[0:1]
	v_cmp_le_u32_e64 s[0:1], s19, v10
	v_cndmask_b32_e64 v12, 0, -1, s[0:1]
	v_cmp_le_u32_e64 s[0:1], s18, v11
	v_cndmask_b32_e64 v11, 0, -1, s[0:1]
	v_cmp_eq_u32_e64 s[0:1], s19, v10
	v_cndmask_b32_e64 v10, v12, v11, s[0:1]
	v_add_co_u32_e64 v11, s[0:1], 2, v4
	v_addc_co_u32_e64 v12, s[0:1], 0, v9, s[0:1]
	v_add_co_u32_e64 v13, s[0:1], 1, v4
	v_addc_co_u32_e64 v14, s[0:1], 0, v9, s[0:1]
	v_subb_co_u32_e32 v8, vcc, v6, v8, vcc
	v_cmp_ne_u32_e64 s[0:1], 0, v10
	v_cmp_le_u32_e32 vcc, s19, v8
	v_cndmask_b32_e64 v10, v14, v12, s[0:1]
	v_cndmask_b32_e64 v12, 0, -1, vcc
	v_cmp_le_u32_e32 vcc, s18, v7
	v_cndmask_b32_e64 v7, 0, -1, vcc
	v_cmp_eq_u32_e32 vcc, s19, v8
	v_cndmask_b32_e32 v7, v12, v7, vcc
	v_cmp_ne_u32_e32 vcc, 0, v7
	v_cndmask_b32_e64 v7, v13, v11, s[0:1]
	v_cndmask_b32_e32 v8, v9, v10, vcc
	v_cndmask_b32_e32 v7, v4, v7, vcc
.LBB0_4:                                ;   in Loop: Header=BB0_2 Depth=1
	s_andn2_saveexec_b64 s[0:1], s[20:21]
	s_cbranch_execz .LBB0_6
; %bb.5:                                ;   in Loop: Header=BB0_2 Depth=1
	v_cvt_f32_u32_e32 v4, s18
	s_sub_i32 s20, 0, s18
	v_rcp_iflag_f32_e32 v4, v4
	v_mul_f32_e32 v4, 0x4f7ffffe, v4
	v_cvt_u32_f32_e32 v4, v4
	v_mul_lo_u32 v7, s20, v4
	v_mul_hi_u32 v7, v4, v7
	v_add_u32_e32 v4, v4, v7
	v_mul_hi_u32 v4, v5, v4
	v_mul_lo_u32 v7, v4, s18
	v_add_u32_e32 v8, 1, v4
	v_sub_u32_e32 v7, v5, v7
	v_subrev_u32_e32 v9, s18, v7
	v_cmp_le_u32_e32 vcc, s18, v7
	v_cndmask_b32_e32 v7, v7, v9, vcc
	v_cndmask_b32_e32 v4, v4, v8, vcc
	v_add_u32_e32 v8, 1, v4
	v_cmp_le_u32_e32 vcc, s18, v7
	v_cndmask_b32_e32 v7, v4, v8, vcc
	v_mov_b32_e32 v8, v3
.LBB0_6:                                ;   in Loop: Header=BB0_2 Depth=1
	s_or_b64 exec, exec, s[0:1]
	v_mul_lo_u32 v4, v8, s18
	v_mul_lo_u32 v11, v7, s19
	v_mad_u64_u32 v[9:10], s[0:1], v7, s18, 0
	s_load_dwordx2 s[0:1], s[6:7], 0x0
	s_add_u32 s16, s16, 1
	v_add3_u32 v4, v10, v11, v4
	v_sub_co_u32_e32 v5, vcc, v5, v9
	v_subb_co_u32_e32 v4, vcc, v6, v4, vcc
	s_waitcnt lgkmcnt(0)
	v_mul_lo_u32 v4, s0, v4
	v_mul_lo_u32 v6, s1, v5
	v_mad_u64_u32 v[1:2], s[0:1], s0, v5, v[1:2]
	s_addc_u32 s17, s17, 0
	s_add_u32 s6, s6, 8
	v_add3_u32 v2, v6, v2, v4
	v_mov_b32_e32 v4, s10
	v_mov_b32_e32 v5, s11
	s_addc_u32 s7, s7, 0
	v_cmp_ge_u64_e32 vcc, s[16:17], v[4:5]
	s_add_u32 s14, s14, 8
	s_addc_u32 s15, s15, 0
	s_cbranch_vccnz .LBB0_9
; %bb.7:                                ;   in Loop: Header=BB0_2 Depth=1
	v_mov_b32_e32 v5, v7
	v_mov_b32_e32 v6, v8
	s_branch .LBB0_2
.LBB0_8:
	v_mov_b32_e32 v8, v6
	v_mov_b32_e32 v7, v5
.LBB0_9:
	s_lshl_b64 s[0:1], s[10:11], 3
	s_add_u32 s0, s2, s0
	s_addc_u32 s1, s3, s1
	s_load_dwordx2 s[2:3], s[0:1], 0x0
	s_load_dwordx2 s[6:7], s[4:5], 0x20
                                        ; implicit-def: $vgpr16
                                        ; implicit-def: $vgpr19
                                        ; implicit-def: $vgpr18
	s_waitcnt lgkmcnt(0)
	v_mad_u64_u32 v[1:2], s[0:1], s2, v7, v[1:2]
	s_mov_b32 s0, 0x1b4e81c
	v_mul_lo_u32 v3, s2, v8
	v_mul_lo_u32 v4, s3, v7
	v_mul_hi_u32 v5, v0, s0
	v_cmp_gt_u64_e64 s[0:1], s[6:7], v[7:8]
	v_cmp_le_u64_e32 vcc, s[6:7], v[7:8]
	v_add3_u32 v2, v4, v2, v3
	v_mul_u32_u24_e32 v3, 0x96, v5
	v_sub_u32_e32 v12, v0, v3
	s_and_saveexec_b64 s[2:3], vcc
	s_xor_b64 s[2:3], exec, s[2:3]
; %bb.10:
	v_add_u32_e32 v16, 0x96, v12
	v_add_u32_e32 v19, 0x12c, v12
	;; [unrolled: 1-line block ×3, first 2 shown]
; %bb.11:
	s_or_saveexec_b64 s[2:3], s[2:3]
	v_lshlrev_b64 v[14:15], 3, v[1:2]
	v_lshl_add_u32 v34, v12, 3, 0
	s_xor_b64 exec, exec, s[2:3]
	s_cbranch_execz .LBB0_13
; %bb.12:
	v_mov_b32_e32 v13, 0
	v_mov_b32_e32 v0, s13
	v_add_co_u32_e32 v2, vcc, s12, v14
	v_addc_co_u32_e32 v3, vcc, v0, v15, vcc
	v_lshlrev_b64 v[0:1], 3, v[12:13]
	s_movk_i32 s4, 0x1000
	v_add_co_u32_e32 v0, vcc, v2, v0
	v_addc_co_u32_e32 v1, vcc, v3, v1, vcc
	v_add_co_u32_e32 v4, vcc, s4, v0
	v_addc_co_u32_e32 v5, vcc, 0, v1, vcc
	v_add_co_u32_e32 v6, vcc, 0x2000, v0
	global_load_dwordx2 v[2:3], v[0:1], off offset:3600
	v_addc_co_u32_e32 v7, vcc, 0, v1, vcc
	global_load_dwordx2 v[8:9], v[0:1], off
	global_load_dwordx2 v[10:11], v[0:1], off offset:2400
	global_load_dwordx2 v[20:21], v[0:1], off offset:1200
	;; [unrolled: 1-line block ×8, first 2 shown]
	v_add_u32_e32 v0, 0x800, v34
	v_add_u32_e32 v16, 0x96, v12
	;; [unrolled: 1-line block ×7, first 2 shown]
	s_waitcnt vmcnt(7)
	ds_write2_b64 v0, v[10:11], v[2:3] offset0:44 offset1:194
	s_waitcnt vmcnt(6)
	ds_write2_b64 v34, v[8:9], v[20:21] offset1:150
	s_waitcnt vmcnt(4)
	ds_write2_b64 v1, v[22:23], v[24:25] offset0:88 offset1:238
	s_waitcnt vmcnt(2)
	ds_write2_b64 v4, v[26:27], v[28:29] offset0:4 offset1:154
	;; [unrolled: 2-line block ×3, first 2 shown]
.LBB0_13:
	s_or_b64 exec, exec, s[2:3]
	v_add_u32_e32 v4, 0x800, v34
	s_waitcnt lgkmcnt(0)
	s_barrier
	ds_read2_b64 v[0:3], v34 offset1:150
	ds_read2_b64 v[20:23], v4 offset0:44 offset1:194
	v_add_u32_e32 v6, 0x1000, v34
	ds_read2_b64 v[24:27], v6 offset0:88 offset1:238
	v_add_u32_e32 v7, 0x1c00, v34
	;; [unrolled: 2-line block ×3, first 2 shown]
	ds_read2_b64 v[35:38], v8 offset0:48 offset1:198
	s_waitcnt lgkmcnt(3)
	v_add_f32_e32 v4, v0, v20
	s_waitcnt lgkmcnt(2)
	v_add_f32_e32 v4, v4, v24
	;; [unrolled: 2-line block ×3, first 2 shown]
	v_sub_f32_e32 v10, v25, v29
	s_waitcnt lgkmcnt(0)
	v_add_f32_e32 v9, v4, v35
	v_add_f32_e32 v4, v24, v28
	v_fma_f32 v4, -0.5, v4, v0
	v_sub_f32_e32 v5, v21, v36
	v_mov_b32_e32 v32, v4
	v_fmac_f32_e32 v32, 0x3f737871, v5
	v_sub_f32_e32 v11, v20, v24
	v_sub_f32_e32 v13, v35, v28
	v_fmac_f32_e32 v4, 0xbf737871, v5
	v_fmac_f32_e32 v32, 0x3f167918, v10
	v_add_f32_e32 v11, v11, v13
	v_fmac_f32_e32 v4, 0xbf167918, v10
	v_fmac_f32_e32 v32, 0x3e9e377a, v11
	;; [unrolled: 1-line block ×3, first 2 shown]
	v_add_f32_e32 v11, v20, v35
	v_fma_f32 v0, -0.5, v11, v0
	v_mov_b32_e32 v39, v0
	v_fmac_f32_e32 v39, 0xbf737871, v10
	v_fmac_f32_e32 v0, 0x3f737871, v10
	v_fmac_f32_e32 v39, 0x3f167918, v5
	v_fmac_f32_e32 v0, 0xbf167918, v5
	v_add_f32_e32 v5, v1, v21
	v_add_f32_e32 v5, v5, v25
	;; [unrolled: 1-line block ×3, first 2 shown]
	v_sub_f32_e32 v11, v24, v20
	v_sub_f32_e32 v13, v28, v35
	v_add_f32_e32 v10, v5, v36
	v_add_f32_e32 v5, v25, v29
	v_add_f32_e32 v11, v11, v13
	v_fma_f32 v5, -0.5, v5, v1
	v_fmac_f32_e32 v39, 0x3e9e377a, v11
	v_fmac_f32_e32 v0, 0x3e9e377a, v11
	v_sub_f32_e32 v11, v20, v35
	v_mov_b32_e32 v33, v5
	v_fmac_f32_e32 v33, 0xbf737871, v11
	v_sub_f32_e32 v13, v24, v28
	v_sub_f32_e32 v17, v21, v25
	;; [unrolled: 1-line block ×3, first 2 shown]
	v_fmac_f32_e32 v5, 0x3f737871, v11
	v_fmac_f32_e32 v33, 0xbf167918, v13
	v_add_f32_e32 v17, v17, v20
	v_fmac_f32_e32 v5, 0x3f167918, v13
	v_fmac_f32_e32 v33, 0x3e9e377a, v17
	;; [unrolled: 1-line block ×3, first 2 shown]
	v_add_f32_e32 v17, v21, v36
	v_fma_f32 v1, -0.5, v17, v1
	v_mov_b32_e32 v40, v1
	v_fmac_f32_e32 v40, 0x3f737871, v13
	v_fmac_f32_e32 v1, 0xbf737871, v13
	;; [unrolled: 1-line block ×4, first 2 shown]
	v_add_f32_e32 v11, v2, v22
	v_add_f32_e32 v11, v11, v26
	v_sub_f32_e32 v17, v25, v21
	v_sub_f32_e32 v20, v29, v36
	v_add_f32_e32 v11, v11, v30
	v_add_f32_e32 v17, v17, v20
	;; [unrolled: 1-line block ×4, first 2 shown]
	v_fma_f32 v24, -0.5, v11, v2
	v_sub_f32_e32 v11, v23, v38
	v_mov_b32_e32 v28, v24
	v_fmac_f32_e32 v40, 0x3e9e377a, v17
	v_fmac_f32_e32 v1, 0x3e9e377a, v17
	;; [unrolled: 1-line block ×3, first 2 shown]
	v_sub_f32_e32 v13, v27, v31
	v_sub_f32_e32 v17, v22, v26
	;; [unrolled: 1-line block ×3, first 2 shown]
	v_fmac_f32_e32 v24, 0xbf737871, v11
	v_fmac_f32_e32 v28, 0x3f167918, v13
	v_add_f32_e32 v17, v17, v21
	v_fmac_f32_e32 v24, 0xbf167918, v13
	v_fmac_f32_e32 v28, 0x3e9e377a, v17
	;; [unrolled: 1-line block ×3, first 2 shown]
	v_add_f32_e32 v17, v22, v37
	v_fma_f32 v2, -0.5, v17, v2
	v_mov_b32_e32 v35, v2
	v_fmac_f32_e32 v35, 0xbf737871, v13
	v_fmac_f32_e32 v2, 0x3f737871, v13
	;; [unrolled: 1-line block ×4, first 2 shown]
	v_add_f32_e32 v11, v3, v23
	v_add_f32_e32 v11, v11, v27
	v_sub_f32_e32 v17, v26, v22
	v_sub_f32_e32 v21, v30, v37
	v_add_f32_e32 v11, v11, v31
	v_add_f32_e32 v17, v17, v21
	;; [unrolled: 1-line block ×4, first 2 shown]
	v_fma_f32 v25, -0.5, v11, v3
	v_sub_f32_e32 v11, v22, v37
	v_mov_b32_e32 v29, v25
	v_fmac_f32_e32 v35, 0x3e9e377a, v17
	v_fmac_f32_e32 v2, 0x3e9e377a, v17
	;; [unrolled: 1-line block ×3, first 2 shown]
	v_sub_f32_e32 v13, v26, v30
	v_sub_f32_e32 v17, v23, v27
	;; [unrolled: 1-line block ×3, first 2 shown]
	v_fmac_f32_e32 v25, 0x3f737871, v11
	v_fmac_f32_e32 v29, 0xbf167918, v13
	v_add_f32_e32 v17, v17, v22
	v_fmac_f32_e32 v25, 0x3f167918, v13
	v_fmac_f32_e32 v29, 0x3e9e377a, v17
	v_fmac_f32_e32 v25, 0x3e9e377a, v17
	v_add_f32_e32 v17, v23, v38
	v_fmac_f32_e32 v3, -0.5, v17
	v_mov_b32_e32 v36, v3
	v_fmac_f32_e32 v36, 0x3f737871, v13
	v_fmac_f32_e32 v3, 0xbf737871, v13
	v_fmac_f32_e32 v36, 0xbf167918, v11
	v_sub_f32_e32 v17, v27, v23
	v_sub_f32_e32 v22, v31, v38
	v_fmac_f32_e32 v3, 0x3f167918, v11
	v_lshl_add_u32 v11, v12, 5, v34
	s_movk_i32 s2, 0xcd
	v_add_f32_e32 v17, v17, v22
	s_barrier
	ds_write2_b64 v11, v[9:10], v[32:33] offset1:1
	ds_write2_b64 v11, v[39:40], v[0:1] offset0:2 offset1:3
	ds_write_b64 v11, v[4:5] offset:32
	v_mad_i32_i24 v13, v16, 40, 0
	v_mul_lo_u16_sdwa v0, v12, s2 dst_sel:DWORD dst_unused:UNUSED_PAD src0_sel:BYTE_0 src1_sel:DWORD
	v_fmac_f32_e32 v36, 0x3e9e377a, v17
	v_fmac_f32_e32 v3, 0x3e9e377a, v17
	ds_write2_b64 v13, v[20:21], v[28:29] offset1:1
	ds_write2_b64 v13, v[35:36], v[2:3] offset0:2 offset1:3
	ds_write_b64 v13, v[24:25] offset:32
	v_lshrrev_b16_e32 v2, 10, v0
	v_mul_lo_u16_e32 v0, 5, v2
	v_sub_u16_e32 v4, v12, v0
	v_mov_b32_e32 v3, 9
	v_mul_u32_u24_sdwa v0, v4, v3 dst_sel:DWORD dst_unused:UNUSED_PAD src0_sel:BYTE_0 src1_sel:DWORD
	v_lshlrev_b32_e32 v0, 3, v0
	s_waitcnt lgkmcnt(0)
	s_barrier
	global_load_dwordx4 v[23:26], v0, s[8:9]
	global_load_dwordx4 v[27:30], v0, s[8:9] offset:16
	global_load_dwordx4 v[37:40], v0, s[8:9] offset:32
	;; [unrolled: 1-line block ×3, first 2 shown]
	global_load_dwordx2 v[9:10], v0, s[8:9] offset:64
	v_lshl_add_u32 v36, v19, 3, 0
	ds_read_b64 v[0:1], v34
	ds_read_b64 v[20:21], v36
	v_lshlrev_b32_e32 v17, 5, v16
	v_sub_u32_e32 v22, v13, v17
	v_lshl_add_u32 v35, v18, 3, 0
	ds_read_b64 v[31:32], v22
	ds_read_b64 v[57:58], v35
	ds_read2_b64 v[45:48], v6 offset0:88 offset1:238
	ds_read2_b64 v[49:52], v7 offset0:4 offset1:154
	;; [unrolled: 1-line block ×3, first 2 shown]
	s_mov_b32 s5, 0x3f737871
	s_mov_b32 s3, 0xbf737871
	;; [unrolled: 1-line block ×4, first 2 shown]
	s_waitcnt vmcnt(0) lgkmcnt(0)
	s_barrier
	v_sub_u32_e32 v17, 0, v17
	v_cmp_gt_u32_e32 vcc, 50, v12
	v_mul_f32_e32 v5, v24, v32
	v_mul_f32_e32 v11, v24, v31
	v_fma_f32 v5, v23, v31, -v5
	v_fmac_f32_e32 v11, v23, v32
	v_mul_f32_e32 v23, v26, v21
	v_fma_f32 v23, v25, v20, -v23
	v_mul_f32_e32 v20, v26, v20
	v_fmac_f32_e32 v20, v25, v21
	v_mul_f32_e32 v21, v28, v58
	v_mul_f32_e32 v24, v28, v57
	v_fma_f32 v21, v27, v57, -v21
	v_fmac_f32_e32 v24, v27, v58
	v_mul_f32_e32 v25, v30, v46
	v_mul_f32_e32 v26, v30, v45
	;; [unrolled: 1-line block ×6, first 2 shown]
	v_fma_f32 v25, v29, v45, -v25
	v_fmac_f32_e32 v26, v29, v46
	v_mul_f32_e32 v29, v50, v40
	v_fma_f32 v38, v55, v9, -v38
	v_fmac_f32_e32 v10, v56, v9
	v_add_f32_e32 v9, v0, v23
	v_fma_f32 v29, v49, v39, -v29
	v_mul_f32_e32 v33, v54, v44
	v_add_f32_e32 v9, v9, v25
	v_mul_f32_e32 v30, v49, v40
	v_fma_f32 v33, v53, v43, -v33
	v_add_f32_e32 v9, v9, v29
	v_fma_f32 v27, v37, v47, -v27
	v_fmac_f32_e32 v28, v37, v48
	v_fmac_f32_e32 v30, v50, v39
	v_mul_f32_e32 v37, v53, v44
	v_add_f32_e32 v39, v9, v33
	v_add_f32_e32 v9, v25, v29
	v_mul_f32_e32 v31, v52, v42
	v_mul_f32_e32 v32, v51, v42
	v_fmac_f32_e32 v37, v54, v43
	v_fma_f32 v40, -0.5, v9, v0
	v_fma_f32 v31, v51, v41, -v31
	v_fmac_f32_e32 v32, v52, v41
	v_sub_f32_e32 v9, v20, v37
	v_mov_b32_e32 v41, v40
	v_fmac_f32_e32 v41, 0x3f737871, v9
	v_sub_f32_e32 v42, v26, v30
	v_sub_f32_e32 v43, v23, v25
	;; [unrolled: 1-line block ×3, first 2 shown]
	v_fmac_f32_e32 v40, 0xbf737871, v9
	v_fmac_f32_e32 v41, 0x3f167918, v42
	v_add_f32_e32 v43, v43, v44
	v_fmac_f32_e32 v40, 0xbf167918, v42
	v_fmac_f32_e32 v41, 0x3e9e377a, v43
	;; [unrolled: 1-line block ×3, first 2 shown]
	v_add_f32_e32 v43, v23, v33
	v_fma_f32 v0, -0.5, v43, v0
	v_mov_b32_e32 v43, v0
	v_fmac_f32_e32 v43, 0xbf737871, v42
	v_fmac_f32_e32 v0, 0x3f737871, v42
	;; [unrolled: 1-line block ×4, first 2 shown]
	v_add_f32_e32 v9, v1, v20
	v_add_f32_e32 v9, v9, v26
	v_sub_f32_e32 v44, v25, v23
	v_sub_f32_e32 v45, v29, v33
	v_add_f32_e32 v9, v9, v30
	v_add_f32_e32 v44, v44, v45
	;; [unrolled: 1-line block ×4, first 2 shown]
	v_fmac_f32_e32 v43, 0x3e9e377a, v44
	v_fmac_f32_e32 v0, 0x3e9e377a, v44
	v_fma_f32 v44, -0.5, v9, v1
	v_sub_f32_e32 v9, v23, v33
	v_mov_b32_e32 v33, v44
	v_fmac_f32_e32 v33, 0xbf737871, v9
	v_sub_f32_e32 v23, v25, v29
	v_sub_f32_e32 v25, v20, v26
	;; [unrolled: 1-line block ×3, first 2 shown]
	v_fmac_f32_e32 v44, 0x3f737871, v9
	v_fmac_f32_e32 v33, 0xbf167918, v23
	v_add_f32_e32 v25, v25, v29
	v_fmac_f32_e32 v44, 0x3f167918, v23
	v_fmac_f32_e32 v33, 0x3e9e377a, v25
	;; [unrolled: 1-line block ×3, first 2 shown]
	v_add_f32_e32 v25, v20, v37
	v_fmac_f32_e32 v1, -0.5, v25
	v_mov_b32_e32 v45, v1
	v_fmac_f32_e32 v45, 0x3f737871, v23
	v_fmac_f32_e32 v1, 0xbf737871, v23
	v_fmac_f32_e32 v45, 0xbf167918, v9
	v_fmac_f32_e32 v1, 0x3f167918, v9
	v_add_f32_e32 v9, v5, v21
	v_add_f32_e32 v9, v9, v27
	;; [unrolled: 1-line block ×5, first 2 shown]
	v_sub_f32_e32 v20, v26, v20
	v_sub_f32_e32 v25, v30, v37
	v_fma_f32 v30, -0.5, v9, v5
	v_add_f32_e32 v20, v20, v25
	v_sub_f32_e32 v9, v24, v10
	v_mov_b32_e32 v26, v30
	v_fmac_f32_e32 v45, 0x3e9e377a, v20
	v_fmac_f32_e32 v1, 0x3e9e377a, v20
	;; [unrolled: 1-line block ×3, first 2 shown]
	v_sub_f32_e32 v20, v28, v32
	v_sub_f32_e32 v23, v21, v27
	;; [unrolled: 1-line block ×3, first 2 shown]
	v_fmac_f32_e32 v30, 0xbf737871, v9
	v_fmac_f32_e32 v26, 0x3f167918, v20
	v_add_f32_e32 v23, v23, v25
	v_fmac_f32_e32 v30, 0xbf167918, v20
	v_fmac_f32_e32 v26, 0x3e9e377a, v23
	;; [unrolled: 1-line block ×3, first 2 shown]
	v_add_f32_e32 v23, v21, v38
	v_fmac_f32_e32 v5, -0.5, v23
	v_mov_b32_e32 v37, v5
	v_fmac_f32_e32 v37, 0xbf737871, v20
	v_fmac_f32_e32 v5, 0x3f737871, v20
	;; [unrolled: 1-line block ×4, first 2 shown]
	v_add_f32_e32 v9, v11, v24
	v_add_f32_e32 v9, v9, v28
	;; [unrolled: 1-line block ×5, first 2 shown]
	v_sub_f32_e32 v23, v27, v21
	v_sub_f32_e32 v25, v31, v38
	v_fma_f32 v47, -0.5, v9, v11
	v_add_f32_e32 v23, v23, v25
	v_sub_f32_e32 v9, v21, v38
	v_mov_b32_e32 v21, v47
	v_fmac_f32_e32 v37, 0x3e9e377a, v23
	v_fmac_f32_e32 v5, 0x3e9e377a, v23
	;; [unrolled: 1-line block ×3, first 2 shown]
	v_sub_f32_e32 v20, v27, v31
	v_sub_f32_e32 v23, v24, v28
	;; [unrolled: 1-line block ×3, first 2 shown]
	v_fmac_f32_e32 v47, 0x3f737871, v9
	v_fmac_f32_e32 v21, 0xbf167918, v20
	v_add_f32_e32 v23, v23, v25
	v_fmac_f32_e32 v47, 0x3f167918, v20
	v_fmac_f32_e32 v21, 0x3e9e377a, v23
	;; [unrolled: 1-line block ×3, first 2 shown]
	v_add_f32_e32 v23, v24, v10
	v_fmac_f32_e32 v11, -0.5, v23
	v_mov_b32_e32 v31, v11
	v_fmac_f32_e32 v31, 0x3f737871, v20
	v_sub_f32_e32 v23, v28, v24
	v_sub_f32_e32 v10, v32, v10
	v_fmac_f32_e32 v11, 0xbf737871, v20
	v_fmac_f32_e32 v31, 0xbf167918, v9
	v_add_f32_e32 v10, v23, v10
	v_fmac_f32_e32 v11, 0x3f167918, v9
	v_fmac_f32_e32 v31, 0x3e9e377a, v10
	;; [unrolled: 1-line block ×3, first 2 shown]
	v_mul_f32_e32 v10, 0x3e9e377a, v5
	v_fma_f32 v48, v11, s5, -v10
	v_mul_f32_e32 v11, 0x3e9e377a, v11
	v_mul_f32_e32 v32, 0x3f167918, v21
	v_fma_f32 v5, v5, s3, -v11
	v_fmac_f32_e32 v32, 0x3f4f1bbd, v26
	v_mul_f32_e32 v50, 0xbf167918, v26
	v_add_f32_e32 v26, v1, v5
	v_sub_f32_e32 v1, v1, v5
	v_mul_u32_u24_e32 v5, 0x190, v2
	v_mov_b32_e32 v2, 3
	v_mul_f32_e32 v38, 0x3f737871, v31
	v_mul_f32_e32 v10, 0x3f4f1bbd, v30
	v_fmac_f32_e32 v50, 0x3f4f1bbd, v21
	v_mul_f32_e32 v51, 0xbf737871, v37
	v_mul_f32_e32 v11, 0x3f4f1bbd, v47
	v_lshlrev_b32_sdwa v4, v2, v4 dst_sel:DWORD dst_unused:UNUSED_PAD src0_sel:DWORD src1_sel:BYTE_0
	v_add_f32_e32 v9, v39, v29
	v_add_f32_e32 v20, v41, v32
	v_fmac_f32_e32 v38, 0x3e9e377a, v37
	v_add_f32_e32 v25, v0, v48
	v_fma_f32 v49, v47, s4, -v10
	v_add_f32_e32 v10, v42, v46
	v_add_f32_e32 v21, v33, v50
	v_fmac_f32_e32 v51, 0x3e9e377a, v31
	v_fma_f32 v11, v30, s2, -v11
	v_sub_f32_e32 v0, v0, v48
	v_add3_u32 v4, 0, v5, v4
	v_add_f32_e32 v23, v43, v38
	v_add_f32_e32 v27, v40, v49
	;; [unrolled: 1-line block ×4, first 2 shown]
	v_sub_f32_e32 v29, v39, v29
	v_sub_f32_e32 v31, v41, v32
	;; [unrolled: 1-line block ×8, first 2 shown]
	ds_write2_b64 v4, v[9:10], v[20:21] offset1:5
	ds_write2_b64 v4, v[23:24], v[25:26] offset0:10 offset1:15
	ds_write2_b64 v4, v[27:28], v[29:30] offset0:20 offset1:25
	;; [unrolled: 1-line block ×4, first 2 shown]
	v_mov_b32_e32 v0, 41
	v_mul_lo_u16_sdwa v0, v12, v0 dst_sel:DWORD dst_unused:UNUSED_PAD src0_sel:BYTE_0 src1_sel:DWORD
	v_lshrrev_b16_e32 v5, 11, v0
	v_mul_lo_u16_e32 v0, 50, v5
	v_sub_u16_e32 v4, v12, v0
	v_mul_u32_u24_sdwa v0, v4, v3 dst_sel:DWORD dst_unused:UNUSED_PAD src0_sel:BYTE_0 src1_sel:DWORD
	v_lshlrev_b32_e32 v0, 3, v0
	s_waitcnt lgkmcnt(0)
	s_barrier
	global_load_dwordx4 v[23:26], v0, s[8:9] offset:360
	global_load_dwordx4 v[27:30], v0, s[8:9] offset:376
	;; [unrolled: 1-line block ×4, first 2 shown]
	global_load_dwordx2 v[10:11], v0, s[8:9] offset:424
	ds_read_b64 v[0:1], v34
	ds_read_b64 v[20:21], v36
	;; [unrolled: 1-line block ×4, first 2 shown]
	ds_read2_b64 v[45:48], v6 offset0:88 offset1:238
	ds_read2_b64 v[49:52], v7 offset0:4 offset1:154
	;; [unrolled: 1-line block ×3, first 2 shown]
	v_lshlrev_b32_sdwa v2, v2, v4 dst_sel:DWORD dst_unused:UNUSED_PAD src0_sel:DWORD src1_sel:BYTE_0
	s_waitcnt vmcnt(0) lgkmcnt(0)
	s_barrier
	v_add_u32_e32 v4, 0x2200, v34
	v_mul_f32_e32 v3, v24, v32
	v_mul_f32_e32 v24, v24, v31
	v_fma_f32 v3, v23, v31, -v3
	v_fmac_f32_e32 v24, v23, v32
	v_mul_f32_e32 v23, v26, v21
	v_fma_f32 v23, v25, v20, -v23
	v_mul_f32_e32 v20, v26, v20
	v_fmac_f32_e32 v20, v25, v21
	v_mul_f32_e32 v21, v28, v54
	v_mul_f32_e32 v25, v28, v53
	v_fma_f32 v21, v27, v53, -v21
	v_fmac_f32_e32 v25, v27, v54
	v_mul_f32_e32 v26, v30, v46
	v_mul_f32_e32 v27, v30, v45
	v_fma_f32 v26, v29, v45, -v26
	;; [unrolled: 4-line block ×3, first 2 shown]
	v_fmac_f32_e32 v29, v37, v48
	v_mul_f32_e32 v37, v7, v44
	v_fma_f32 v37, v6, v43, -v37
	v_mul_f32_e32 v6, v6, v44
	v_fmac_f32_e32 v6, v7, v43
	v_mul_f32_e32 v7, v9, v11
	v_fma_f32 v7, v8, v10, -v7
	v_mul_f32_e32 v8, v8, v11
	v_mul_f32_e32 v30, v50, v40
	v_fmac_f32_e32 v8, v9, v10
	v_add_f32_e32 v9, v0, v23
	v_fma_f32 v30, v49, v39, -v30
	v_add_f32_e32 v9, v9, v26
	v_add_f32_e32 v9, v9, v30
	v_mul_f32_e32 v31, v49, v40
	v_add_f32_e32 v38, v9, v37
	v_add_f32_e32 v9, v26, v30
	v_fmac_f32_e32 v31, v50, v39
	v_fma_f32 v39, -0.5, v9, v0
	v_mul_f32_e32 v32, v52, v42
	v_mul_f32_e32 v33, v51, v42
	v_sub_f32_e32 v9, v20, v6
	v_mov_b32_e32 v40, v39
	v_fma_f32 v32, v51, v41, -v32
	v_fmac_f32_e32 v33, v52, v41
	v_fmac_f32_e32 v40, 0x3f737871, v9
	v_sub_f32_e32 v10, v27, v31
	v_sub_f32_e32 v11, v23, v26
	;; [unrolled: 1-line block ×3, first 2 shown]
	v_fmac_f32_e32 v39, 0xbf737871, v9
	v_fmac_f32_e32 v40, 0x3f167918, v10
	v_add_f32_e32 v11, v11, v41
	v_fmac_f32_e32 v39, 0xbf167918, v10
	v_fmac_f32_e32 v40, 0x3e9e377a, v11
	v_fmac_f32_e32 v39, 0x3e9e377a, v11
	v_add_f32_e32 v11, v23, v37
	v_fma_f32 v0, -0.5, v11, v0
	v_mov_b32_e32 v41, v0
	v_fmac_f32_e32 v41, 0xbf737871, v10
	v_fmac_f32_e32 v0, 0x3f737871, v10
	;; [unrolled: 1-line block ×4, first 2 shown]
	v_add_f32_e32 v9, v1, v20
	v_add_f32_e32 v9, v9, v27
	v_sub_f32_e32 v11, v26, v23
	v_sub_f32_e32 v42, v30, v37
	v_add_f32_e32 v9, v9, v31
	v_add_f32_e32 v11, v11, v42
	;; [unrolled: 1-line block ×4, first 2 shown]
	v_fma_f32 v43, -0.5, v9, v1
	v_sub_f32_e32 v9, v23, v37
	v_mov_b32_e32 v37, v43
	v_fmac_f32_e32 v41, 0x3e9e377a, v11
	v_fmac_f32_e32 v0, 0x3e9e377a, v11
	;; [unrolled: 1-line block ×3, first 2 shown]
	v_sub_f32_e32 v10, v26, v30
	v_sub_f32_e32 v11, v20, v27
	;; [unrolled: 1-line block ×3, first 2 shown]
	v_fmac_f32_e32 v43, 0x3f737871, v9
	v_fmac_f32_e32 v37, 0xbf167918, v10
	v_add_f32_e32 v11, v11, v23
	v_fmac_f32_e32 v43, 0x3f167918, v10
	v_fmac_f32_e32 v37, 0x3e9e377a, v11
	v_fmac_f32_e32 v43, 0x3e9e377a, v11
	v_add_f32_e32 v11, v20, v6
	v_fmac_f32_e32 v1, -0.5, v11
	v_mov_b32_e32 v44, v1
	v_fmac_f32_e32 v44, 0x3f737871, v10
	v_sub_f32_e32 v11, v27, v20
	v_sub_f32_e32 v6, v31, v6
	v_fmac_f32_e32 v1, 0xbf737871, v10
	v_fmac_f32_e32 v44, 0xbf167918, v9
	v_add_f32_e32 v6, v11, v6
	v_fmac_f32_e32 v1, 0x3f167918, v9
	v_fmac_f32_e32 v44, 0x3e9e377a, v6
	;; [unrolled: 1-line block ×3, first 2 shown]
	v_add_f32_e32 v6, v3, v21
	v_add_f32_e32 v6, v6, v28
	;; [unrolled: 1-line block ×5, first 2 shown]
	v_fma_f32 v26, -0.5, v6, v3
	v_sub_f32_e32 v6, v25, v8
	v_mov_b32_e32 v9, v26
	v_fmac_f32_e32 v9, 0x3f737871, v6
	v_sub_f32_e32 v10, v29, v33
	v_sub_f32_e32 v11, v21, v28
	;; [unrolled: 1-line block ×3, first 2 shown]
	v_fmac_f32_e32 v26, 0xbf737871, v6
	v_fmac_f32_e32 v9, 0x3f167918, v10
	v_add_f32_e32 v11, v11, v23
	v_fmac_f32_e32 v26, 0xbf167918, v10
	v_fmac_f32_e32 v9, 0x3e9e377a, v11
	;; [unrolled: 1-line block ×3, first 2 shown]
	v_add_f32_e32 v11, v21, v7
	v_fmac_f32_e32 v3, -0.5, v11
	v_mov_b32_e32 v11, v3
	v_fmac_f32_e32 v11, 0xbf737871, v10
	v_fmac_f32_e32 v3, 0x3f737871, v10
	;; [unrolled: 1-line block ×4, first 2 shown]
	v_add_f32_e32 v6, v24, v25
	v_add_f32_e32 v6, v6, v29
	;; [unrolled: 1-line block ×3, first 2 shown]
	v_sub_f32_e32 v23, v28, v21
	v_sub_f32_e32 v27, v32, v7
	v_add_f32_e32 v30, v6, v8
	v_add_f32_e32 v6, v29, v33
	;; [unrolled: 1-line block ×3, first 2 shown]
	v_fma_f32 v27, -0.5, v6, v24
	v_sub_f32_e32 v6, v21, v7
	v_mov_b32_e32 v21, v27
	v_fmac_f32_e32 v11, 0x3e9e377a, v23
	v_fmac_f32_e32 v3, 0x3e9e377a, v23
	;; [unrolled: 1-line block ×3, first 2 shown]
	v_sub_f32_e32 v7, v28, v32
	v_sub_f32_e32 v10, v25, v29
	;; [unrolled: 1-line block ×3, first 2 shown]
	v_fmac_f32_e32 v27, 0x3f737871, v6
	v_fmac_f32_e32 v21, 0xbf167918, v7
	v_add_f32_e32 v10, v10, v23
	v_fmac_f32_e32 v27, 0x3f167918, v7
	v_fmac_f32_e32 v21, 0x3e9e377a, v10
	;; [unrolled: 1-line block ×3, first 2 shown]
	v_add_f32_e32 v10, v25, v8
	v_fmac_f32_e32 v24, -0.5, v10
	v_mov_b32_e32 v28, v24
	v_sub_f32_e32 v10, v29, v25
	v_sub_f32_e32 v8, v33, v8
	v_fmac_f32_e32 v24, 0xbf737871, v7
	v_add_f32_e32 v8, v10, v8
	v_fmac_f32_e32 v24, 0x3f167918, v6
	v_fmac_f32_e32 v28, 0x3f737871, v7
	;; [unrolled: 1-line block ×3, first 2 shown]
	v_mul_f32_e32 v7, 0x3e9e377a, v3
	v_fmac_f32_e32 v28, 0xbf167918, v6
	v_fma_f32 v32, v24, s5, -v7
	v_mul_f32_e32 v24, 0x3e9e377a, v24
	v_fmac_f32_e32 v28, 0x3e9e377a, v8
	v_mul_f32_e32 v29, 0x3f167918, v21
	v_mul_f32_e32 v7, 0x3f4f1bbd, v26
	;; [unrolled: 1-line block ×3, first 2 shown]
	v_fma_f32 v3, v3, s3, -v24
	v_fmac_f32_e32 v29, 0x3f4f1bbd, v9
	v_mul_f32_e32 v31, 0x3f737871, v28
	v_fma_f32 v33, v27, s4, -v7
	v_fmac_f32_e32 v45, 0x3f4f1bbd, v21
	v_mul_f32_e32 v21, 0xbf737871, v11
	v_add_f32_e32 v24, v1, v3
	v_mul_f32_e32 v27, 0x3f4f1bbd, v27
	v_sub_f32_e32 v1, v1, v3
	v_mul_u32_u24_e32 v3, 0xfa0, v5
	v_add_f32_e32 v6, v38, v20
	v_add_f32_e32 v8, v40, v29
	v_fmac_f32_e32 v31, 0x3e9e377a, v11
	v_add_f32_e32 v7, v42, v30
	v_add_f32_e32 v9, v37, v45
	v_fmac_f32_e32 v21, 0x3e9e377a, v28
	v_fma_f32 v46, v26, s2, -v27
	v_add3_u32 v2, 0, v3, v2
	v_add_f32_e32 v10, v41, v31
	v_add_f32_e32 v23, v0, v32
	;; [unrolled: 1-line block ×5, first 2 shown]
	v_sub_f32_e32 v27, v38, v20
	v_sub_f32_e32 v29, v40, v29
	;; [unrolled: 1-line block ×7, first 2 shown]
	ds_write2_b64 v2, v[6:7], v[8:9] offset1:50
	ds_write2_b64 v2, v[10:11], v[23:24] offset0:100 offset1:150
	ds_write2_b64 v2, v[25:26], v[27:28] offset0:200 offset1:250
	v_add_u32_e32 v2, 0x800, v2
	v_sub_f32_e32 v20, v39, v33
	v_sub_f32_e32 v21, v43, v46
	ds_write2_b64 v2, v[29:30], v[31:32] offset0:44 offset1:94
	ds_write2_b64 v2, v[0:1], v[20:21] offset0:144 offset1:194
	v_add_u32_e32 v0, 0xe00, v34
	s_waitcnt lgkmcnt(0)
	s_barrier
	ds_read2_b64 v[8:11], v0 offset0:52 offset1:202
	v_add_u32_e32 v0, 0x1800, v34
	ds_read2_b64 v[0:3], v0 offset0:32 offset1:232
	ds_read2_b64 v[4:7], v4 offset0:62 offset1:212
	ds_read_b64 v[30:31], v34
	ds_read_b64 v[28:29], v22
	;; [unrolled: 1-line block ×3, first 2 shown]
                                        ; implicit-def: $vgpr23
                                        ; implicit-def: $vgpr25
	s_and_saveexec_b64 s[2:3], vcc
	s_cbranch_execz .LBB0_15
; %bb.14:
	ds_read_b64 v[20:21], v35
	ds_read_b64 v[24:25], v34 offset:7600
	ds_read_b64 v[22:23], v34 offset:11600
.LBB0_15:
	s_or_b64 exec, exec, s[2:3]
	v_lshlrev_b32_e32 v32, 1, v12
	v_mov_b32_e32 v33, 0
	v_lshlrev_b64 v[37:38], 3, v[32:33]
	v_lshlrev_b32_e32 v32, 1, v16
	v_mov_b32_e32 v47, s9
	v_add_co_u32_e64 v37, s[2:3], s8, v37
	v_lshlrev_b64 v[41:42], 3, v[32:33]
	v_addc_co_u32_e64 v38, s[2:3], v47, v38, s[2:3]
	v_lshlrev_b32_e32 v32, 1, v19
	v_add_co_u32_e64 v41, s[2:3], s8, v41
	v_lshlrev_b64 v[45:46], 3, v[32:33]
	v_addc_co_u32_e64 v42, s[2:3], v47, v42, s[2:3]
	global_load_dwordx4 v[37:40], v[37:38], off offset:3960
	v_add_co_u32_e64 v45, s[2:3], s8, v45
	global_load_dwordx4 v[41:44], v[41:42], off offset:3960
	v_addc_co_u32_e64 v46, s[2:3], v47, v46, s[2:3]
	global_load_dwordx4 v[45:48], v[45:46], off offset:3960
	s_waitcnt vmcnt(0) lgkmcnt(0)
	s_barrier
	v_mul_f32_e32 v32, v38, v9
	v_mul_f32_e32 v38, v38, v8
	;; [unrolled: 1-line block ×4, first 2 shown]
	v_fma_f32 v8, v37, v8, -v32
	v_fmac_f32_e32 v38, v37, v9
	v_fmac_f32_e32 v40, v39, v3
	v_mul_f32_e32 v3, v42, v11
	v_mul_f32_e32 v9, v42, v10
	;; [unrolled: 1-line block ×4, first 2 shown]
	v_fma_f32 v3, v41, v10, -v3
	v_fmac_f32_e32 v9, v41, v11
	v_fma_f32 v4, v43, v4, -v32
	v_fmac_f32_e32 v37, v43, v5
	v_mul_f32_e32 v5, v46, v1
	v_mul_f32_e32 v10, v46, v0
	;; [unrolled: 1-line block ×4, first 2 shown]
	v_fma_f32 v2, v39, v2, -v49
	v_sub_f32_e32 v42, v38, v40
	v_add_f32_e32 v43, v31, v38
	v_add_f32_e32 v38, v38, v40
	v_fma_f32 v44, v45, v0, -v5
	v_fmac_f32_e32 v10, v45, v1
	v_fma_f32 v11, v47, v6, -v11
	v_fmac_f32_e32 v32, v47, v7
	v_add_f32_e32 v6, v3, v4
	v_add_f32_e32 v7, v29, v9
	;; [unrolled: 1-line block ×5, first 2 shown]
	v_fmac_f32_e32 v31, -0.5, v38
	v_add_f32_e32 v5, v28, v3
	v_sub_f32_e32 v38, v9, v37
	v_add_f32_e32 v9, v9, v37
	v_fma_f32 v28, -0.5, v6, v28
	v_add_f32_e32 v6, v7, v37
	v_add_f32_e32 v37, v44, v11
	;; [unrolled: 1-line block ×3, first 2 shown]
	v_sub_f32_e32 v8, v8, v2
	v_add_f32_e32 v0, v39, v2
	v_fma_f32 v30, -0.5, v41, v30
	v_sub_f32_e32 v39, v3, v4
	v_mov_b32_e32 v3, v31
	v_add_f32_e32 v5, v5, v4
	v_fmac_f32_e32 v29, -0.5, v9
	v_add_f32_e32 v4, v26, v44
	v_add_f32_e32 v41, v27, v10
	v_mov_b32_e32 v7, v28
	v_fma_f32 v26, -0.5, v37, v26
	v_fmac_f32_e32 v27, -0.5, v43
	v_mov_b32_e32 v2, v30
	v_fmac_f32_e32 v31, 0x3f5db3d7, v8
	v_sub_f32_e32 v40, v10, v32
	v_sub_f32_e32 v44, v44, v11
	v_fmac_f32_e32 v3, 0xbf5db3d7, v8
	v_fmac_f32_e32 v28, 0xbf5db3d7, v38
	v_mov_b32_e32 v8, v29
	v_add_f32_e32 v9, v4, v11
	v_fmac_f32_e32 v7, 0x3f5db3d7, v38
	v_mov_b32_e32 v37, v26
	v_mov_b32_e32 v38, v27
	v_add_u32_e32 v4, v13, v17
	v_fmac_f32_e32 v30, 0xbf5db3d7, v42
	v_fmac_f32_e32 v2, 0x3f5db3d7, v42
	;; [unrolled: 1-line block ×3, first 2 shown]
	v_add_f32_e32 v10, v41, v32
	v_fmac_f32_e32 v8, 0xbf5db3d7, v39
	v_fmac_f32_e32 v26, 0xbf5db3d7, v40
	;; [unrolled: 1-line block ×5, first 2 shown]
	ds_write_b64 v34, v[0:1]
	ds_write_b64 v34, v[2:3] offset:4000
	ds_write_b64 v34, v[30:31] offset:8000
	ds_write_b64 v4, v[5:6]
	ds_write_b64 v4, v[7:8] offset:4000
	ds_write_b64 v4, v[28:29] offset:8000
	;; [unrolled: 3-line block ×3, first 2 shown]
	s_and_saveexec_b64 s[2:3], vcc
	s_cbranch_execz .LBB0_17
; %bb.16:
	v_subrev_u32_e32 v0, 50, v12
	v_cndmask_b32_e32 v0, v0, v18, vcc
	v_lshlrev_b32_e32 v32, 1, v0
	v_lshlrev_b64 v[0:1], 3, v[32:33]
	v_mov_b32_e32 v2, s9
	v_add_co_u32_e32 v0, vcc, s8, v0
	v_addc_co_u32_e32 v1, vcc, v2, v1, vcc
	global_load_dwordx4 v[0:3], v[0:1], off offset:3960
	s_waitcnt vmcnt(0)
	v_mul_f32_e32 v5, v25, v1
	v_mul_f32_e32 v6, v23, v3
	;; [unrolled: 1-line block ×4, first 2 shown]
	v_fma_f32 v5, v24, v0, -v5
	v_fma_f32 v6, v22, v2, -v6
	v_fmac_f32_e32 v1, v25, v0
	v_fmac_f32_e32 v3, v23, v2
	v_add_f32_e32 v0, v1, v3
	v_add_f32_e32 v8, v5, v6
	v_sub_f32_e32 v7, v5, v6
	v_add_f32_e32 v2, v21, v1
	v_sub_f32_e32 v9, v1, v3
	v_add_f32_e32 v5, v20, v5
	v_fma_f32 v1, -0.5, v0, v21
	v_fma_f32 v0, -0.5, v8, v20
	v_add_f32_e32 v3, v2, v3
	v_add_f32_e32 v2, v5, v6
	v_mov_b32_e32 v6, v1
	v_fmac_f32_e32 v1, 0xbf5db3d7, v7
	v_mov_b32_e32 v5, v0
	v_fmac_f32_e32 v0, 0x3f5db3d7, v9
	ds_write_b64 v34, v[2:3] offset:3600
	v_fmac_f32_e32 v6, 0x3f5db3d7, v7
	v_fmac_f32_e32 v5, 0xbf5db3d7, v9
	ds_write_b64 v34, v[0:1] offset:7600
	ds_write_b64 v34, v[5:6] offset:11600
.LBB0_17:
	s_or_b64 exec, exec, s[2:3]
	s_waitcnt lgkmcnt(0)
	s_barrier
	ds_read_b64 v[2:3], v34
	s_add_u32 s4, s8, 0x2eb8
	v_lshlrev_b32_e32 v0, 3, v12
	s_addc_u32 s5, s9, 0
	v_sub_u32_e32 v5, 0, v0
	v_cmp_ne_u32_e32 vcc, 0, v12
                                        ; implicit-def: $vgpr0
                                        ; implicit-def: $vgpr6
                                        ; implicit-def: $vgpr7
	s_and_saveexec_b64 s[2:3], vcc
	s_xor_b64 s[2:3], exec, s[2:3]
	s_cbranch_execz .LBB0_19
; %bb.18:
	v_mov_b32_e32 v13, 0
	v_lshlrev_b64 v[0:1], 3, v[12:13]
	v_mov_b32_e32 v6, s5
	v_add_co_u32_e32 v0, vcc, s4, v0
	v_addc_co_u32_e32 v1, vcc, v6, v1, vcc
	global_load_dwordx2 v[8:9], v[0:1], off
	ds_read_b64 v[0:1], v5 offset:12000
	s_waitcnt lgkmcnt(0)
	v_add_f32_e32 v10, v0, v2
	v_sub_f32_e32 v0, v2, v0
	v_add_f32_e32 v6, v1, v3
	v_sub_f32_e32 v1, v3, v1
	v_mul_f32_e32 v3, 0.5, v0
	v_mul_f32_e32 v2, 0.5, v6
	;; [unrolled: 1-line block ×3, first 2 shown]
	s_waitcnt vmcnt(0)
	v_mul_f32_e32 v1, v9, v3
	v_fma_f32 v7, v2, v9, v0
	v_fma_f32 v9, v2, v9, -v0
	v_fma_f32 v6, 0.5, v10, v1
	v_fma_f32 v0, v10, 0.5, -v1
	v_fma_f32 v7, -v8, v3, v7
	v_fmac_f32_e32 v6, v8, v2
	v_fma_f32 v0, -v8, v2, v0
	v_fma_f32 v1, -v8, v3, v9
                                        ; implicit-def: $vgpr2_vgpr3
.LBB0_19:
	s_andn2_saveexec_b64 s[2:3], s[2:3]
	s_cbranch_execz .LBB0_21
; %bb.20:
	v_mov_b32_e32 v7, 0
	ds_read_b32 v1, v7 offset:6004
	s_waitcnt lgkmcnt(1)
	v_add_f32_e32 v6, v2, v3
	v_sub_f32_e32 v0, v2, v3
	s_waitcnt lgkmcnt(0)
	v_xor_b32_e32 v1, 0x80000000, v1
	ds_write_b32 v7, v1 offset:6004
	v_mov_b32_e32 v1, 0
.LBB0_21:
	s_or_b64 exec, exec, s[2:3]
	v_mov_b32_e32 v17, 0
	s_waitcnt lgkmcnt(0)
	v_lshlrev_b64 v[2:3], 3, v[16:17]
	v_mov_b32_e32 v8, s5
	v_add_co_u32_e32 v2, vcc, s4, v2
	v_addc_co_u32_e32 v3, vcc, v8, v3, vcc
	global_load_dwordx2 v[2:3], v[2:3], off
	v_mov_b32_e32 v20, v17
	v_lshlrev_b64 v[8:9], 3, v[19:20]
	v_mov_b32_e32 v10, s5
	v_add_co_u32_e32 v8, vcc, s4, v8
	v_addc_co_u32_e32 v9, vcc, v10, v9, vcc
	global_load_dwordx2 v[8:9], v[8:9], off
	v_mov_b32_e32 v19, v17
	v_lshlrev_b64 v[10:11], 3, v[18:19]
	v_mov_b32_e32 v13, s5
	v_add_co_u32_e32 v10, vcc, s4, v10
	v_addc_co_u32_e32 v11, vcc, v13, v11, vcc
	global_load_dwordx2 v[10:11], v[10:11], off
	v_add_u32_e32 v16, 0x258, v12
	v_lshlrev_b64 v[18:19], 3, v[16:17]
	ds_write2_b32 v34, v6, v7 offset1:1
	ds_write_b64 v5, v[0:1] offset:12000
	v_add_co_u32_e32 v18, vcc, s4, v18
	v_addc_co_u32_e32 v19, vcc, v13, v19, vcc
	ds_read_b64 v[0:1], v4
	ds_read_b64 v[6:7], v5 offset:10800
	global_load_dwordx2 v[18:19], v[18:19], off
	s_movk_i32 s2, 0x1000
	s_waitcnt lgkmcnt(0)
	v_add_f32_e32 v13, v0, v6
	v_add_f32_e32 v16, v1, v7
	v_sub_f32_e32 v0, v0, v6
	v_sub_f32_e32 v1, v1, v7
	v_mul_f32_e32 v6, 0.5, v16
	v_mul_f32_e32 v0, 0.5, v0
	;; [unrolled: 1-line block ×3, first 2 shown]
	s_waitcnt vmcnt(3)
	v_mul_f32_e32 v7, v3, v0
	v_fma_f32 v16, v6, v3, v1
	v_fma_f32 v1, v6, v3, -v1
	v_fma_f32 v3, 0.5, v13, v7
	v_fma_f32 v16, -v2, v0, v16
	v_fma_f32 v7, v13, 0.5, -v7
	v_fma_f32 v0, -v2, v0, v1
	v_fmac_f32_e32 v3, v2, v6
	ds_write_b32 v4, v16 offset:4
	v_fma_f32 v1, -v2, v6, v7
	ds_write_b32 v5, v0 offset:10804
	ds_write_b32 v4, v3
	ds_write_b32 v5, v1 offset:10800
	ds_read_b64 v[0:1], v36
	ds_read_b64 v[2:3], v5 offset:9600
	s_waitcnt lgkmcnt(0)
	v_add_f32_e32 v4, v0, v2
	v_sub_f32_e32 v0, v0, v2
	v_add_f32_e32 v6, v1, v3
	v_sub_f32_e32 v1, v1, v3
	v_mul_f32_e32 v0, 0.5, v0
	v_mul_f32_e32 v2, 0.5, v6
	;; [unrolled: 1-line block ×3, first 2 shown]
	s_waitcnt vmcnt(2)
	v_mul_f32_e32 v3, v9, v0
	v_fma_f32 v6, v2, v9, v1
	v_fma_f32 v7, 0.5, v4, v3
	v_fma_f32 v1, v2, v9, -v1
	v_fma_f32 v6, -v8, v0, v6
	v_fma_f32 v3, v4, 0.5, -v3
	v_fmac_f32_e32 v7, v8, v2
	v_fma_f32 v1, -v8, v0, v1
	v_fma_f32 v0, -v8, v2, v3
	ds_write2_b32 v36, v7, v6 offset1:1
	ds_write_b64 v5, v[0:1] offset:9600
	ds_read_b64 v[0:1], v35
	ds_read_b64 v[2:3], v5 offset:8400
	s_waitcnt lgkmcnt(0)
	v_add_f32_e32 v4, v0, v2
	v_sub_f32_e32 v0, v0, v2
	v_add_f32_e32 v6, v1, v3
	v_sub_f32_e32 v1, v1, v3
	v_mul_f32_e32 v0, 0.5, v0
	v_mul_f32_e32 v2, 0.5, v6
	;; [unrolled: 1-line block ×3, first 2 shown]
	s_waitcnt vmcnt(1)
	v_mul_f32_e32 v3, v11, v0
	v_fma_f32 v6, v2, v11, v1
	v_fma_f32 v7, 0.5, v4, v3
	v_fma_f32 v1, v2, v11, -v1
	v_fma_f32 v6, -v10, v0, v6
	v_fma_f32 v3, v4, 0.5, -v3
	v_fmac_f32_e32 v7, v10, v2
	v_fma_f32 v1, -v10, v0, v1
	v_fma_f32 v0, -v10, v2, v3
	ds_write2_b32 v35, v7, v6 offset1:1
	ds_write_b64 v5, v[0:1] offset:8400
	ds_read_b64 v[0:1], v34 offset:4800
	ds_read_b64 v[3:4], v5 offset:7200
	v_add_u32_e32 v2, 0x1000, v34
	s_waitcnt lgkmcnt(0)
	v_add_f32_e32 v6, v0, v3
	v_sub_f32_e32 v0, v0, v3
	v_add_f32_e32 v7, v1, v4
	v_sub_f32_e32 v1, v1, v4
	v_mul_f32_e32 v0, 0.5, v0
	v_mul_f32_e32 v3, 0.5, v7
	v_mul_f32_e32 v1, 0.5, v1
	s_waitcnt vmcnt(0)
	v_mul_f32_e32 v4, v19, v0
	v_fma_f32 v7, v3, v19, v1
	v_fma_f32 v8, 0.5, v6, v4
	v_fma_f32 v1, v3, v19, -v1
	v_fma_f32 v7, -v18, v0, v7
	v_fma_f32 v4, v6, 0.5, -v4
	v_fmac_f32_e32 v8, v18, v3
	v_fma_f32 v1, -v18, v0, v1
	v_fma_f32 v0, -v18, v3, v4
	ds_write2_b32 v2, v8, v7 offset0:176 offset1:177
	ds_write_b64 v5, v[0:1] offset:7200
	s_waitcnt lgkmcnt(0)
	s_barrier
	s_and_saveexec_b64 s[4:5], s[0:1]
	s_cbranch_execz .LBB0_24
; %bb.22:
	v_mov_b32_e32 v13, v17
	ds_read2_b64 v[3:6], v34 offset1:150
	v_mov_b32_e32 v0, s13
	v_add_co_u32_e32 v1, vcc, s12, v14
	v_lshlrev_b64 v[13:14], 3, v[12:13]
	v_add_u32_e32 v7, 0x800, v34
	v_addc_co_u32_e32 v0, vcc, v0, v15, vcc
	ds_read2_b64 v[7:10], v7 offset0:44 offset1:194
	v_add_co_u32_e32 v13, vcc, v1, v13
	v_addc_co_u32_e32 v14, vcc, v0, v14, vcc
	s_waitcnt lgkmcnt(1)
	global_store_dwordx2 v[13:14], v[3:4], off
	global_store_dwordx2 v[13:14], v[5:6], off offset:1200
	s_waitcnt lgkmcnt(0)
	global_store_dwordx2 v[13:14], v[7:8], off offset:2400
	global_store_dwordx2 v[13:14], v[9:10], off offset:3600
	ds_read2_b64 v[2:5], v2 offset0:88 offset1:238
	v_add_u32_e32 v6, 0x1c00, v34
	ds_read2_b64 v[6:9], v6 offset0:4 offset1:154
	v_add_co_u32_e32 v10, vcc, s2, v13
	v_addc_co_u32_e32 v11, vcc, 0, v14, vcc
	s_waitcnt lgkmcnt(1)
	global_store_dwordx2 v[10:11], v[2:3], off offset:704
	global_store_dwordx2 v[10:11], v[4:5], off offset:1904
	s_waitcnt lgkmcnt(0)
	global_store_dwordx2 v[10:11], v[6:7], off offset:3104
	v_add_u32_e32 v2, 0x2400, v34
	ds_read2_b64 v[2:5], v2 offset0:48 offset1:198
	v_add_co_u32_e32 v6, vcc, 0x2000, v13
	v_addc_co_u32_e32 v7, vcc, 0, v14, vcc
	s_movk_i32 s0, 0x95
	v_cmp_eq_u32_e32 vcc, s0, v12
	global_store_dwordx2 v[6:7], v[8:9], off offset:208
	s_waitcnt lgkmcnt(0)
	global_store_dwordx2 v[6:7], v[2:3], off offset:1408
	global_store_dwordx2 v[6:7], v[4:5], off offset:2608
	s_and_b64 exec, exec, vcc
	s_cbranch_execz .LBB0_24
; %bb.23:
	v_mov_b32_e32 v2, 0
	ds_read_b64 v[2:3], v2 offset:12000
	v_add_co_u32_e32 v4, vcc, 0x2000, v1
	v_addc_co_u32_e32 v5, vcc, 0, v0, vcc
	s_waitcnt lgkmcnt(0)
	global_store_dwordx2 v[4:5], v[2:3], off offset:3808
.LBB0_24:
	s_endpgm
	.section	.rodata,"a",@progbits
	.p2align	6, 0x0
	.amdhsa_kernel fft_rtc_fwd_len1500_factors_5_10_10_3_wgs_150_tpt_150_halfLds_sp_ip_CI_unitstride_sbrr_R2C_dirReg
		.amdhsa_group_segment_fixed_size 0
		.amdhsa_private_segment_fixed_size 0
		.amdhsa_kernarg_size 88
		.amdhsa_user_sgpr_count 6
		.amdhsa_user_sgpr_private_segment_buffer 1
		.amdhsa_user_sgpr_dispatch_ptr 0
		.amdhsa_user_sgpr_queue_ptr 0
		.amdhsa_user_sgpr_kernarg_segment_ptr 1
		.amdhsa_user_sgpr_dispatch_id 0
		.amdhsa_user_sgpr_flat_scratch_init 0
		.amdhsa_user_sgpr_private_segment_size 0
		.amdhsa_uses_dynamic_stack 0
		.amdhsa_system_sgpr_private_segment_wavefront_offset 0
		.amdhsa_system_sgpr_workgroup_id_x 1
		.amdhsa_system_sgpr_workgroup_id_y 0
		.amdhsa_system_sgpr_workgroup_id_z 0
		.amdhsa_system_sgpr_workgroup_info 0
		.amdhsa_system_vgpr_workitem_id 0
		.amdhsa_next_free_vgpr 59
		.amdhsa_next_free_sgpr 22
		.amdhsa_reserve_vcc 1
		.amdhsa_reserve_flat_scratch 0
		.amdhsa_float_round_mode_32 0
		.amdhsa_float_round_mode_16_64 0
		.amdhsa_float_denorm_mode_32 3
		.amdhsa_float_denorm_mode_16_64 3
		.amdhsa_dx10_clamp 1
		.amdhsa_ieee_mode 1
		.amdhsa_fp16_overflow 0
		.amdhsa_exception_fp_ieee_invalid_op 0
		.amdhsa_exception_fp_denorm_src 0
		.amdhsa_exception_fp_ieee_div_zero 0
		.amdhsa_exception_fp_ieee_overflow 0
		.amdhsa_exception_fp_ieee_underflow 0
		.amdhsa_exception_fp_ieee_inexact 0
		.amdhsa_exception_int_div_zero 0
	.end_amdhsa_kernel
	.text
.Lfunc_end0:
	.size	fft_rtc_fwd_len1500_factors_5_10_10_3_wgs_150_tpt_150_halfLds_sp_ip_CI_unitstride_sbrr_R2C_dirReg, .Lfunc_end0-fft_rtc_fwd_len1500_factors_5_10_10_3_wgs_150_tpt_150_halfLds_sp_ip_CI_unitstride_sbrr_R2C_dirReg
                                        ; -- End function
	.section	.AMDGPU.csdata,"",@progbits
; Kernel info:
; codeLenInByte = 7100
; NumSgprs: 26
; NumVgprs: 59
; ScratchSize: 0
; MemoryBound: 0
; FloatMode: 240
; IeeeMode: 1
; LDSByteSize: 0 bytes/workgroup (compile time only)
; SGPRBlocks: 3
; VGPRBlocks: 14
; NumSGPRsForWavesPerEU: 26
; NumVGPRsForWavesPerEU: 59
; Occupancy: 4
; WaveLimiterHint : 1
; COMPUTE_PGM_RSRC2:SCRATCH_EN: 0
; COMPUTE_PGM_RSRC2:USER_SGPR: 6
; COMPUTE_PGM_RSRC2:TRAP_HANDLER: 0
; COMPUTE_PGM_RSRC2:TGID_X_EN: 1
; COMPUTE_PGM_RSRC2:TGID_Y_EN: 0
; COMPUTE_PGM_RSRC2:TGID_Z_EN: 0
; COMPUTE_PGM_RSRC2:TIDIG_COMP_CNT: 0
	.type	__hip_cuid_f6ff72c7211cd317,@object ; @__hip_cuid_f6ff72c7211cd317
	.section	.bss,"aw",@nobits
	.globl	__hip_cuid_f6ff72c7211cd317
__hip_cuid_f6ff72c7211cd317:
	.byte	0                               ; 0x0
	.size	__hip_cuid_f6ff72c7211cd317, 1

	.ident	"AMD clang version 19.0.0git (https://github.com/RadeonOpenCompute/llvm-project roc-6.4.0 25133 c7fe45cf4b819c5991fe208aaa96edf142730f1d)"
	.section	".note.GNU-stack","",@progbits
	.addrsig
	.addrsig_sym __hip_cuid_f6ff72c7211cd317
	.amdgpu_metadata
---
amdhsa.kernels:
  - .args:
      - .actual_access:  read_only
        .address_space:  global
        .offset:         0
        .size:           8
        .value_kind:     global_buffer
      - .offset:         8
        .size:           8
        .value_kind:     by_value
      - .actual_access:  read_only
        .address_space:  global
        .offset:         16
        .size:           8
        .value_kind:     global_buffer
      - .actual_access:  read_only
        .address_space:  global
        .offset:         24
        .size:           8
        .value_kind:     global_buffer
      - .offset:         32
        .size:           8
        .value_kind:     by_value
      - .actual_access:  read_only
        .address_space:  global
        .offset:         40
        .size:           8
        .value_kind:     global_buffer
      - .actual_access:  read_only
        .address_space:  global
        .offset:         48
        .size:           8
        .value_kind:     global_buffer
      - .offset:         56
        .size:           4
        .value_kind:     by_value
      - .actual_access:  read_only
        .address_space:  global
        .offset:         64
        .size:           8
        .value_kind:     global_buffer
      - .actual_access:  read_only
        .address_space:  global
        .offset:         72
        .size:           8
        .value_kind:     global_buffer
      - .address_space:  global
        .offset:         80
        .size:           8
        .value_kind:     global_buffer
    .group_segment_fixed_size: 0
    .kernarg_segment_align: 8
    .kernarg_segment_size: 88
    .language:       OpenCL C
    .language_version:
      - 2
      - 0
    .max_flat_workgroup_size: 150
    .name:           fft_rtc_fwd_len1500_factors_5_10_10_3_wgs_150_tpt_150_halfLds_sp_ip_CI_unitstride_sbrr_R2C_dirReg
    .private_segment_fixed_size: 0
    .sgpr_count:     26
    .sgpr_spill_count: 0
    .symbol:         fft_rtc_fwd_len1500_factors_5_10_10_3_wgs_150_tpt_150_halfLds_sp_ip_CI_unitstride_sbrr_R2C_dirReg.kd
    .uniform_work_group_size: 1
    .uses_dynamic_stack: false
    .vgpr_count:     59
    .vgpr_spill_count: 0
    .wavefront_size: 64
amdhsa.target:   amdgcn-amd-amdhsa--gfx906
amdhsa.version:
  - 1
  - 2
...

	.end_amdgpu_metadata
